;; amdgpu-corpus repo=linkedin/Liger-Kernel kind=triton arch=gfx950 opt=O3 lang=triton
	.amdgcn_target "amdgcn-amd-amdhsa--gfx950"
	.amdhsa_code_object_version 5
	.text
	.globl	_triton_rope                    ; -- Begin function _triton_rope
	.p2align	8
	.type	_triton_rope,@function
_triton_rope:                           ; @_triton_rope
.Lfunc_begin0:
	.cfi_sections .debug_frame
	.cfi_startproc
; %bb.1:
	.file	1 "/root/src/amdgpu-assembly/repos/linkedin__Liger-Kernel/triton_aot_kernels" "rope_aot.py"
	.loc	1 8 0 prologue_end              ; rope_aot.py:8:0
	s_load_dwordx2 s[2:3], s[0:1], 0x0
	s_load_dwordx8 s[4:11], s[0:1], 0x8
	s_load_dwordx4 s[12:15], s[0:1], 0x28
	s_waitcnt lgkmcnt(0)
	s_branch .LBB0_0
	.loc	1 0 0 is_stmt 0                 ; :0:0
.Ltmp0:
	.p2align	8
; %bb.2:
.LBB0_0:
	s_load_dwordx2 s[18:19], s[0:1], 0x38
.Ltmp1:
	.loc	1 39 26 is_stmt 1               ; rope_aot.py:39:26
	s_mul_hi_i32 s1, s4, s16
	s_mul_i32 s0, s4, s16
	.loc	1 39 20 is_stmt 0               ; rope_aot.py:39:20
	s_lshl_b64 s[0:1], s[0:1], 1
	s_add_u32 s4, s2, s0
	s_addc_u32 s5, s3, s1
	.loc	1 40 26 is_stmt 1               ; rope_aot.py:40:26
	s_mul_hi_i32 s1, s8, s16
	s_mul_i32 s0, s8, s16
	.loc	1 40 20 is_stmt 0               ; rope_aot.py:40:20
	s_lshl_b64 s[0:1], s[0:1], 1
	s_add_u32 s0, s6, s0
	s_addc_u32 s1, s7, s1
	.loc	1 54 24 is_stmt 1               ; rope_aot.py:54:24
	s_waitcnt lgkmcnt(0)
	s_abs_i32 s2, s19
	v_cvt_f32_u32_e32 v1, s2
	s_sub_i32 s8, 0, s2
	s_abs_i32 s7, s16
	s_ashr_i32 s3, s16, 31
	v_rcp_iflag_f32_e32 v1, v1
	.loc	1 77 50                         ; rope_aot.py:77:50
	v_readfirstlane_b32 s6, v0
	.loc	1 66 31                         ; rope_aot.py:66:31
	v_and_b32_e32 v0, 63, v0
	.loc	1 54 24                         ; rope_aot.py:54:24
	v_mul_f32_e32 v1, 0x4f7ffffe, v1
	v_cvt_u32_f32_e32 v1, v1
	s_nop 0
	v_readfirstlane_b32 s9, v1
	s_mul_i32 s8, s8, s9
	s_mul_hi_u32 s8, s9, s8
	s_add_i32 s9, s9, s8
	s_mul_hi_u32 s8, s7, s9
	s_mul_i32 s8, s8, s2
	s_sub_i32 s7, s7, s8
	s_sub_i32 s8, s7, s2
	s_cmp_ge_u32 s7, s2
	s_cselect_b32 s7, s8, s7
	s_sub_i32 s8, s7, s2
	s_cmp_ge_u32 s7, s2
	s_cselect_b32 s2, s8, s7
	s_xor_b32 s2, s2, s3
	s_sub_i32 s7, s2, s3
	.loc	1 57 22                         ; rope_aot.py:57:22
	s_mul_hi_i32 s3, s7, s12
	s_mul_i32 s2, s7, s12
	.loc	1 55 16                         ; rope_aot.py:55:16
	s_lshl_b64 s[2:3], s[2:3], 1
	s_add_u32 s8, s10, s2
	s_addc_u32 s9, s11, s3
	.loc	1 62 22                         ; rope_aot.py:62:22
	s_mul_hi_i32 s3, s7, s18
	s_mul_i32 s2, s7, s18
	.loc	1 60 16                         ; rope_aot.py:60:16
	s_lshl_b64 s[2:3], s[2:3], 1
	s_add_u32 s12, s14, s2
	s_addc_u32 s2, s15, s3
	.loc	1 69 22                         ; rope_aot.py:69:22
	s_and_b32 s13, s2, 0xffff
	.loc	1 76 61                         ; rope_aot.py:76:61
	s_lshl_b32 s2, s6, 1
	s_and_b32 s2, s2, 0x180
	s_mov_b32 s11, 0x27000
	s_mov_b32 s10, 0x7ffffffe
	.loc	1 68 22                         ; rope_aot.py:68:22
	v_lshlrev_b32_e32 v1, 1, v0
	.loc	1 76 66                         ; rope_aot.py:76:66
	v_or_b32_e32 v0, s2, v0
	.loc	1 69 22                         ; rope_aot.py:69:22
	s_mov_b32 s14, s10
	s_mov_b32 s15, s11
	.loc	1 80 23                         ; rope_aot.py:80:23
	s_and_b32 s5, s5, 0xffff
	s_mov_b32 s6, s10
	s_mov_b32 s7, s11
	v_lshlrev_b32_e32 v0, 1, v0
	.loc	1 68 22                         ; rope_aot.py:68:22
	s_and_b32 s9, s9, 0xffff
	.loc	1 69 22                         ; rope_aot.py:69:22
	buffer_load_ushort v2, v1, s[12:15], 0 offen
	.loc	1 88 23                         ; rope_aot.py:88:23
	buffer_load_ushort v3, v0, s[4:7], 0 offen offset:3200
	buffer_load_ushort v4, v0, s[4:7], 0 offen offset:2176
	;; [unrolled: 1-line block ×4, first 2 shown]
	v_or_b32_e32 v7, 0x1000, v0
	.loc	1 68 22                         ; rope_aot.py:68:22
	buffer_load_ushort v1, v1, s[8:11], 0 offen
	.loc	1 88 23                         ; rope_aot.py:88:23
	s_nop 0
	buffer_load_ushort v8, v7, s[4:7], 0 offen offset:3200
	buffer_load_ushort v9, v7, s[4:7], 0 offen offset:2176
	;; [unrolled: 1-line block ×4, first 2 shown]
	.loc	1 80 23                         ; rope_aot.py:80:23
	buffer_load_ushort v12, v0, s[4:7], 0 offen
	buffer_load_ushort v13, v0, s[4:7], 0 offen offset:1024
	buffer_load_ushort v14, v0, s[4:7], 0 offen offset:2048
	;; [unrolled: 1-line block ×3, first 2 shown]
	buffer_load_ushort v16, v7, s[4:7], 0 offen
	buffer_load_ushort v17, v7, s[4:7], 0 offen offset:1024
	buffer_load_ushort v18, v7, s[4:7], 0 offen offset:2048
	;; [unrolled: 1-line block ×3, first 2 shown]
	.loc	1 81 23                         ; rope_aot.py:81:23
	s_and_b32 s1, s1, 0xffff
	s_mov_b32 s2, s10
	s_mov_b32 s3, s11
	.loc	1 89 23                         ; rope_aot.py:89:23
	buffer_load_ushort v20, v0, s[0:3], 0 offen offset:1152
	buffer_load_ushort v21, v0, s[0:3], 0 offen offset:128
	.loc	1 81 23                         ; rope_aot.py:81:23
	buffer_load_ushort v22, v0, s[0:3], 0 offen
	buffer_load_ushort v23, v0, s[0:3], 0 offen offset:1024
	.loc	1 93 55                         ; rope_aot.py:93:55
	s_waitcnt vmcnt(20)
	v_mul_f16_e32 v27, v2, v3
	s_waitcnt vmcnt(17)
	v_mul_f16_e32 v24, v2, v6
	v_mul_f16_e32 v25, v2, v5
	.loc	1 95 34                         ; rope_aot.py:95:34
	s_waitcnt vmcnt(16)
	v_mul_f16_e32 v6, v1, v6
	v_mul_f16_e32 v3, v1, v3
	.loc	1 93 55                         ; rope_aot.py:93:55
	v_mul_f16_e32 v26, v2, v4
	.loc	1 95 34                         ; rope_aot.py:95:34
	v_mul_f16_e32 v5, v1, v5
	v_mul_f16_e32 v4, v1, v4
	.loc	1 93 55                         ; rope_aot.py:93:55
	s_waitcnt vmcnt(12)
	v_mul_f16_e32 v28, v2, v11
	v_mul_f16_e32 v29, v2, v10
	;; [unrolled: 1-line block ×4, first 2 shown]
	.loc	1 93 44 is_stmt 0               ; rope_aot.py:93:44
	s_waitcnt vmcnt(11)
	v_fma_f16 v24, v1, v12, -v24
	.loc	1 95 34 is_stmt 1               ; rope_aot.py:95:34
	v_mul_f16_e32 v11, v1, v11
	v_mul_f16_e32 v10, v1, v10
	;; [unrolled: 1-line block ×4, first 2 shown]
	.loc	1 95 44 is_stmt 0               ; rope_aot.py:95:44
	v_fma_f16 v6, v2, v12, v6
	s_waitcnt vmcnt(8)
	v_fma_f16 v3, v2, v15, v3
	.loc	1 93 44 is_stmt 1               ; rope_aot.py:93:44
	v_fma_f16 v25, v1, v13, -v25
	v_fma_f16 v26, v1, v14, -v26
	;; [unrolled: 1-line block ×3, first 2 shown]
	s_waitcnt vmcnt(7)
	v_fma_f16 v28, v1, v16, -v28
	s_waitcnt vmcnt(6)
	v_fma_f16 v29, v1, v17, -v29
	;; [unrolled: 2-line block ×4, first 2 shown]
	.loc	1 94 47                         ; rope_aot.py:94:47
	buffer_store_short v24, v0, s[4:7], 0 offen
	buffer_store_short v25, v0, s[4:7], 0 offen offset:1024
	buffer_store_short v26, v0, s[4:7], 0 offen offset:2048
	;; [unrolled: 1-line block ×3, first 2 shown]
	buffer_store_short v28, v7, s[4:7], 0 offen
	buffer_store_short v29, v7, s[4:7], 0 offen offset:1024
	buffer_store_short v30, v7, s[4:7], 0 offen offset:2048
	;; [unrolled: 1-line block ×3, first 2 shown]
	.loc	1 95 44                         ; rope_aot.py:95:44
	v_fma_f16 v5, v2, v13, v5
	v_fma_f16 v4, v2, v14, v4
	;; [unrolled: 1-line block ×6, first 2 shown]
	.loc	1 96 48                         ; rope_aot.py:96:48
	buffer_store_short v6, v0, s[4:7], 0 offen offset:128
	buffer_store_short v5, v0, s[4:7], 0 offen offset:1152
	;; [unrolled: 1-line block ×8, first 2 shown]
	.loc	1 98 55                         ; rope_aot.py:98:55
	s_waitcnt vmcnt(18)
	v_mul_f16_e32 v3, v2, v21
	v_mul_f16_e32 v4, v2, v20
	.loc	1 98 44 is_stmt 0               ; rope_aot.py:98:44
	s_waitcnt vmcnt(17)
	v_fma_f16 v3, v1, v22, -v3
	s_waitcnt vmcnt(16)
	v_fma_f16 v4, v1, v23, -v4
	.loc	1 99 47 is_stmt 1               ; rope_aot.py:99:47
	buffer_store_short v3, v0, s[0:3], 0 offen
	buffer_store_short v4, v0, s[0:3], 0 offen offset:1024
	.loc	1 100 34                        ; rope_aot.py:100:34
	v_mul_f16_e32 v3, v1, v21
	v_mul_f16_e32 v1, v1, v20
	.loc	1 100 44 is_stmt 0              ; rope_aot.py:100:44
	v_fma_f16 v3, v2, v22, v3
	v_fma_f16 v1, v2, v23, v1
	.loc	1 101 48 is_stmt 1              ; rope_aot.py:101:48
	buffer_store_short v3, v0, s[0:3], 0 offen offset:128
	buffer_store_short v1, v0, s[0:3], 0 offen offset:1152
	.loc	1 91 4                          ; rope_aot.py:91:4
	s_endpgm
.Ltmp2:
	.section	.rodata,"a",@progbits
	.p2align	6, 0x0
	.amdhsa_kernel _triton_rope
		.amdhsa_group_segment_fixed_size 0
		.amdhsa_private_segment_fixed_size 0
		.amdhsa_kernarg_size 80
		.amdhsa_user_sgpr_count 16
		.amdhsa_user_sgpr_dispatch_ptr 0
		.amdhsa_user_sgpr_queue_ptr 0
		.amdhsa_user_sgpr_kernarg_segment_ptr 1
		.amdhsa_user_sgpr_dispatch_id 0
		.amdhsa_user_sgpr_kernarg_preload_length 14
		.amdhsa_user_sgpr_kernarg_preload_offset 0
		.amdhsa_user_sgpr_private_segment_size 0
		.amdhsa_uses_dynamic_stack 0
		.amdhsa_enable_private_segment 0
		.amdhsa_system_sgpr_workgroup_id_x 1
		.amdhsa_system_sgpr_workgroup_id_y 0
		.amdhsa_system_sgpr_workgroup_id_z 0
		.amdhsa_system_sgpr_workgroup_info 0
		.amdhsa_system_vgpr_workitem_id 0
		.amdhsa_next_free_vgpr 32
		.amdhsa_next_free_sgpr 20
		.amdhsa_accum_offset 32
		.amdhsa_reserve_vcc 0
		.amdhsa_reserve_xnack_mask 1
		.amdhsa_float_round_mode_32 0
		.amdhsa_float_round_mode_16_64 0
		.amdhsa_float_denorm_mode_32 3
		.amdhsa_float_denorm_mode_16_64 3
		.amdhsa_dx10_clamp 1
		.amdhsa_ieee_mode 1
		.amdhsa_fp16_overflow 0
		.amdhsa_tg_split 0
		.amdhsa_exception_fp_ieee_invalid_op 0
		.amdhsa_exception_fp_denorm_src 0
		.amdhsa_exception_fp_ieee_div_zero 0
		.amdhsa_exception_fp_ieee_overflow 0
		.amdhsa_exception_fp_ieee_underflow 0
		.amdhsa_exception_fp_ieee_inexact 0
		.amdhsa_exception_int_div_zero 0
	.end_amdhsa_kernel
	.text
.Lfunc_end0:
	.size	_triton_rope, .Lfunc_end0-_triton_rope
	.cfi_endproc
                                        ; -- End function
	.set _triton_rope.num_vgpr, 32
	.set _triton_rope.num_agpr, 0
	.set _triton_rope.numbered_sgpr, 20
	.set _triton_rope.num_named_barrier, 0
	.set _triton_rope.private_seg_size, 0
	.set _triton_rope.uses_vcc, 0
	.set _triton_rope.uses_flat_scratch, 0
	.set _triton_rope.has_dyn_sized_stack, 0
	.set _triton_rope.has_recursion, 0
	.set _triton_rope.has_indirect_call, 0
	.section	.AMDGPU.csdata,"",@progbits
; Kernel info:
; codeLenInByte = 1196
; TotalNumSgprs: 26
; NumVgprs: 32
; NumAgprs: 0
; TotalNumVgprs: 32
; ScratchSize: 0
; MemoryBound: 0
; FloatMode: 240
; IeeeMode: 1
; LDSByteSize: 0 bytes/workgroup (compile time only)
; SGPRBlocks: 3
; VGPRBlocks: 3
; NumSGPRsForWavesPerEU: 26
; NumVGPRsForWavesPerEU: 32
; AccumOffset: 32
; Occupancy: 8
; WaveLimiterHint : 0
; COMPUTE_PGM_RSRC2:SCRATCH_EN: 0
; COMPUTE_PGM_RSRC2:USER_SGPR: 16
; COMPUTE_PGM_RSRC2:TRAP_HANDLER: 0
; COMPUTE_PGM_RSRC2:TGID_X_EN: 1
; COMPUTE_PGM_RSRC2:TGID_Y_EN: 0
; COMPUTE_PGM_RSRC2:TGID_Z_EN: 0
; COMPUTE_PGM_RSRC2:TIDIG_COMP_CNT: 0
; COMPUTE_PGM_RSRC3_GFX90A:ACCUM_OFFSET: 7
; COMPUTE_PGM_RSRC3_GFX90A:TG_SPLIT: 0
	.text
	.p2alignl 6, 3212836864
	.fill 256, 4, 3212836864
	.section	.AMDGPU.gpr_maximums,"",@progbits
	.set amdgpu.max_num_vgpr, 0
	.set amdgpu.max_num_agpr, 0
	.set amdgpu.max_num_sgpr, 0
	.set amdgpu.max_num_named_barrier, 0
	.text
	.section	.debug_abbrev,"",@progbits
	.byte	1                               ; Abbreviation Code
	.byte	17                              ; DW_TAG_compile_unit
	.byte	0                               ; DW_CHILDREN_no
	.byte	37                              ; DW_AT_producer
	.byte	14                              ; DW_FORM_strp
	.byte	19                              ; DW_AT_language
	.byte	5                               ; DW_FORM_data2
	.byte	3                               ; DW_AT_name
	.byte	14                              ; DW_FORM_strp
	.byte	16                              ; DW_AT_stmt_list
	.byte	23                              ; DW_FORM_sec_offset
	.byte	27                              ; DW_AT_comp_dir
	.byte	14                              ; DW_FORM_strp
	.byte	17                              ; DW_AT_low_pc
	.byte	1                               ; DW_FORM_addr
	.byte	18                              ; DW_AT_high_pc
	.byte	6                               ; DW_FORM_data4
	.byte	0                               ; EOM(1)
	.byte	0                               ; EOM(2)
	;; [unrolled: 1-line block ×3, first 2 shown]
	.section	.debug_info,"",@progbits
.Lcu_begin0:
	.long	.Ldebug_info_end0-.Ldebug_info_start0 ; Length of Unit
.Ldebug_info_start0:
	.short	4                               ; DWARF version number
	.long	.debug_abbrev                   ; Offset Into Abbrev. Section
	.byte	8                               ; Address Size (in bytes)
	.byte	1                               ; Abbrev [1] 0xb:0x1f DW_TAG_compile_unit
	.long	.Linfo_string0                  ; DW_AT_producer
	.short	2                               ; DW_AT_language
	.long	.Linfo_string1                  ; DW_AT_name
	.long	.Lline_table_start0             ; DW_AT_stmt_list
	.long	.Linfo_string2                  ; DW_AT_comp_dir
	.quad	.Lfunc_begin0                   ; DW_AT_low_pc
	.long	.Lfunc_end0-.Lfunc_begin0       ; DW_AT_high_pc
.Ldebug_info_end0:
	.section	.debug_str,"MS",@progbits,1
.Linfo_string0:
	.asciz	"triton"                        ; string offset=0
.Linfo_string1:
	.asciz	"rope_aot.py"                   ; string offset=7
.Linfo_string2:
	.asciz	"/root/src/amdgpu-assembly/repos/linkedin__Liger-Kernel/triton_aot_kernels" ; string offset=19
	.section	".note.GNU-stack","",@progbits
	.amdgpu_metadata
---
amdhsa.kernels:
  - .agpr_count:     0
    .args:
      - .address_space:  global
        .offset:         0
        .size:           8
        .value_kind:     global_buffer
      - .offset:         8
        .size:           4
        .value_kind:     by_value
      - .address_space:  global
        .offset:         16
        .size:           8
        .value_kind:     global_buffer
      - .offset:         24
        .size:           4
        .value_kind:     by_value
      - .address_space:  global
        .offset:         32
        .size:           8
        .value_kind:     global_buffer
      - .offset:         40
        .size:           4
        .value_kind:     by_value
      - .address_space:  global
        .offset:         48
        .size:           8
        .value_kind:     global_buffer
      - .offset:         56
        .size:           4
        .value_kind:     by_value
      - .offset:         60
        .size:           4
        .value_kind:     by_value
      - .address_space:  global
        .offset:         64
        .size:           8
        .value_kind:     global_buffer
      - .address_space:  global
        .offset:         72
        .size:           8
        .value_kind:     global_buffer
    .group_segment_fixed_size: 0
    .kernarg_segment_align: 8
    .kernarg_segment_size: 80
    .max_flat_workgroup_size: 256
    .name:           _triton_rope
    .private_segment_fixed_size: 0
    .sgpr_count:     26
    .sgpr_spill_count: 0
    .symbol:         _triton_rope.kd
    .uniform_work_group_size: 1
    .uses_dynamic_stack: false
    .vgpr_count:     32
    .vgpr_spill_count: 0
    .wavefront_size: 64
amdhsa.target:   amdgcn-amd-amdhsa--gfx950
amdhsa.version:
  - 1
  - 2
...

	.end_amdgpu_metadata
	.section	.debug_line,"",@progbits
.Lline_table_start0:
